;; amdgpu-corpus repo=zjin-lcf/HeCBench kind=compiled arch=gfx90a opt=O3
	.text
	.amdgcn_target "amdgcn-amd-amdhsa--gfx90a"
	.amdhsa_code_object_version 6
	.protected	_Z18BP_queens_root_dfsijiPK10queen_rootPyS2_ ; -- Begin function _Z18BP_queens_root_dfsijiPK10queen_rootPyS2_
	.globl	_Z18BP_queens_root_dfsijiPK10queen_rootPyS2_
	.p2align	8
	.type	_Z18BP_queens_root_dfsijiPK10queen_rootPyS2_,@function
_Z18BP_queens_root_dfsijiPK10queen_rootPyS2_: ; @_Z18BP_queens_root_dfsijiPK10queen_rootPyS2_
; %bb.0:
	s_load_dword s0, s[6:7], 0x34
	s_load_dwordx4 s[12:15], s[6:7], 0x0
	v_and_b32_e32 v1, 0x3ff, v0
	s_waitcnt lgkmcnt(0)
	s_and_b32 s0, s0, 0xffff
	s_mul_i32 s8, s8, s0
	v_add_u32_e32 v2, s8, v1
	v_cmp_gt_u32_e32 vcc, s13, v2
	s_and_saveexec_b64 s[0:1], vcc
	s_cbranch_execz .LBB0_36
; %bb.1:
	s_load_dwordx2 s[2:3], s[4:5], 0x4
	s_load_dwordx2 s[0:1], s[6:7], 0x10
	v_bfe_u32 v3, v0, 10, 10
	v_bfe_u32 v0, v0, 20, 10
	s_waitcnt lgkmcnt(0)
	s_lshr_b32 s2, s2, 16
	s_mul_i32 s2, s2, s3
	v_mul_u32_u24_e32 v3, s3, v3
	v_mul_lo_u32 v1, s2, v1
	v_add3_u32 v0, v1, v3, v0
	s_cmp_lt_i32 s12, 1
	v_mul_lo_u32 v6, v0, 20
	s_cbranch_scc1 .LBB0_7
; %bb.2:
	s_cmp_eq_u32 s12, 1
	s_mov_b32 s2, 0
	s_cbranch_scc1 .LBB0_5
; %bb.3:
	s_and_b32 s2, s12, 0x7ffffffe
	s_mov_b32 s3, 0
	v_mov_b32_e32 v0, -1
.LBB0_4:                                ; =>This Inner Loop Header: Depth=1
	v_add_u32_e32 v1, s3, v6
	s_add_i32 s3, s3, 2
	s_cmp_lg_u32 s2, s3
	ds_write_b16 v1, v0
	s_cbranch_scc1 .LBB0_4
.LBB0_5:
	s_bitcmp0_b32 s12, 0
	s_cbranch_scc1 .LBB0_7
; %bb.6:
	v_add_u32_e32 v0, s2, v6
	v_mov_b32_e32 v1, 0xff
	ds_write_b8 v0, v1
.LBB0_7:
	v_ashrrev_i32_e32 v3, 31, v2
	v_lshlrev_b64 v[0:1], 4, v[2:3]
	v_mov_b32_e32 v4, s1
	v_add_co_u32_e32 v0, vcc, s0, v0
	v_addc_co_u32_e32 v1, vcc, v4, v1, vcc
	global_load_dword v7, v[0:1], off
	s_load_dwordx4 s[4:7], s[6:7], 0x18
	s_cmp_lt_i32 s14, 1
	s_cbranch_scc1 .LBB0_13
; %bb.8:
	s_cmp_eq_u32 s14, 1
	s_mov_b32 s0, 0
	s_cbranch_scc1 .LBB0_11
; %bb.9:
	v_add_co_u32_e32 v4, vcc, 4, v0
	v_addc_co_u32_e32 v5, vcc, 0, v1, vcc
	s_and_b32 s0, s14, 0x7ffffffe
	s_mov_b32 s1, 0
.LBB0_10:                               ; =>This Inner Loop Header: Depth=1
	global_load_ushort v8, v[4:5], off
	v_add_u32_e32 v9, s1, v6
	s_add_i32 s1, s1, 2
	v_add_co_u32_e32 v4, vcc, 2, v4
	v_addc_co_u32_e32 v5, vcc, 0, v5, vcc
	s_cmp_lg_u32 s0, s1
	s_waitcnt vmcnt(0)
	ds_write_b16 v9, v8
	s_cbranch_scc1 .LBB0_10
.LBB0_11:
	s_bitcmp0_b32 s14, 0
	s_cbranch_scc1 .LBB0_13
; %bb.12:
	v_add_co_u32_e32 v0, vcc, s0, v0
	v_addc_co_u32_e32 v1, vcc, 0, v1, vcc
	global_load_ubyte v0, v[0:1], off offset:4
	v_add_u32_e32 v1, s0, v6
	s_waitcnt vmcnt(0)
	ds_write_b8 v1, v0
.LBB0_13:
	v_pk_mov_b32 v[4:5], 0, 0
	s_mov_b64 s[2:3], 0
	v_mov_b32_e32 v9, s14
	v_mov_b32_e32 v8, 0xff
	v_pk_mov_b32 v[0:1], v[4:5], v[4:5] op_sel:[0,1]
	s_branch .LBB0_15
.LBB0_14:                               ;   in Loop: Header=BB0_15 Depth=1
	s_or_b64 exec, exec, s[8:9]
	v_cmp_gt_i32_e32 vcc, s14, v9
	s_or_b64 s[2:3], vcc, s[2:3]
	s_andn2_b64 exec, exec, s[2:3]
	s_cbranch_execz .LBB0_35
.LBB0_15:                               ; =>This Loop Header: Depth=1
                                        ;     Child Loop BB0_23 Depth 2
                                        ;     Child Loop BB0_26 Depth 2
	v_add_u32_e32 v12, v6, v9
	ds_read_u8 v10, v12
	s_mov_b64 s[0:1], 0
	s_waitcnt lgkmcnt(0)
	v_add_u16_e32 v11, 1, v10
	v_bfe_i32 v10, v11, 0, 8
	v_cmp_ne_u32_e32 vcc, s12, v10
	ds_write_b8 v12, v11
	s_and_saveexec_b64 s[8:9], vcc
	s_xor_b64 s[8:9], exec, s[8:9]
	s_cbranch_execnz .LBB0_18
; %bb.16:                               ;   in Loop: Header=BB0_15 Depth=1
	s_or_saveexec_b64 s[8:9], s[8:9]
	v_mov_b32_e32 v10, s12
	s_xor_b64 exec, exec, s[8:9]
	s_cbranch_execnz .LBB0_33
.LBB0_17:                               ;   in Loop: Header=BB0_15 Depth=1
	s_or_b64 exec, exec, s[8:9]
	s_and_saveexec_b64 s[8:9], s[0:1]
	s_cbranch_execz .LBB0_14
	s_branch .LBB0_34
.LBB0_18:                               ;   in Loop: Header=BB0_15 Depth=1
	s_waitcnt vmcnt(0)
	v_bfe_u32 v12, v7, v10, 1
	v_cmp_eq_u32_e32 vcc, 0, v12
	s_and_saveexec_b64 s[10:11], vcc
	s_cbranch_execz .LBB0_32
; %bb.19:                               ;   in Loop: Header=BB0_15 Depth=1
	v_cmp_lt_i32_e32 vcc, 0, v9
	s_mov_b64 s[0:1], -1
	s_and_saveexec_b64 s[16:17], vcc
	s_cbranch_execnz .LBB0_22
; %bb.20:                               ;   in Loop: Header=BB0_15 Depth=1
	s_or_b64 exec, exec, s[16:17]
	v_add_u32_e32 v11, 1, v9
	s_and_saveexec_b64 s[16:17], vcc
	s_cbranch_execnz .LBB0_25
.LBB0_21:                               ;   in Loop: Header=BB0_15 Depth=1
	s_or_b64 exec, exec, s[16:17]
	s_mov_b64 s[18:19], 0
	s_and_saveexec_b64 s[16:17], s[0:1]
	s_cbranch_execnz .LBB0_28
	s_branch .LBB0_31
.LBB0_22:                               ;   in Loop: Header=BB0_15 Depth=1
	s_mov_b64 s[20:21], -1
	s_mov_b64 s[18:19], 0
	v_mov_b32_e32 v12, v9
	v_mov_b32_e32 v13, v6
                                        ; implicit-def: $sgpr22_sgpr23
.LBB0_23:                               ;   Parent Loop BB0_15 Depth=1
                                        ; =>  This Inner Loop Header: Depth=2
	ds_read_u8 v14, v13
	v_add_u32_e32 v12, -1, v12
	v_cmp_eq_u32_e64 s[0:1], 0, v12
	v_add_u32_e32 v13, 1, v13
	s_waitcnt lgkmcnt(0)
	v_cmp_ne_u16_sdwa s[24:25], v14, v11 src0_sel:DWORD src1_sel:BYTE_0
	s_and_b64 s[20:21], s[24:25], s[20:21]
	s_or_b64 s[18:19], s[0:1], s[18:19]
	s_andn2_b64 s[0:1], s[22:23], exec
	s_and_b64 s[22:23], s[20:21], exec
	s_or_b64 s[22:23], s[0:1], s[22:23]
	s_andn2_b64 exec, exec, s[18:19]
	s_cbranch_execnz .LBB0_23
; %bb.24:                               ;   in Loop: Header=BB0_15 Depth=1
	s_or_b64 exec, exec, s[18:19]
	s_orn2_b64 s[0:1], s[22:23], exec
	s_or_b64 exec, exec, s[16:17]
	v_add_u32_e32 v11, 1, v9
	s_and_saveexec_b64 s[16:17], vcc
	s_cbranch_execz .LBB0_21
.LBB0_25:                               ;   in Loop: Header=BB0_15 Depth=1
	v_add_u32_e32 v12, 1, v9
	v_add_u32_e32 v13, 1, v10
	v_add_u32_e32 v14, -1, v10
	s_mov_b64 s[18:19], 0
	s_mov_b64 s[22:23], s[0:1]
                                        ; implicit-def: $sgpr20_sgpr21
.LBB0_26:                               ;   Parent Loop BB0_15 Depth=1
                                        ; =>  This Inner Loop Header: Depth=2
	v_add3_u32 v15, v6, v12, -2
	ds_read_u8 v15, v15
	v_add_u32_e32 v12, -1, v12
	v_cmp_gt_u32_e32 vcc, 2, v12
	s_waitcnt lgkmcnt(0)
	v_cmp_ne_u32_sdwa s[24:25], v14, sext(v15) src0_sel:DWORD src1_sel:BYTE_0
	v_cmp_ne_u32_sdwa s[26:27], v13, sext(v15) src0_sel:DWORD src1_sel:BYTE_0
	s_and_b64 s[24:25], s[24:25], s[26:27]
	s_and_b64 s[22:23], s[24:25], s[22:23]
	s_or_b64 s[18:19], vcc, s[18:19]
	s_andn2_b64 s[20:21], s[20:21], exec
	s_and_b64 s[24:25], s[22:23], exec
	v_add_u32_e32 v13, 1, v13
	v_add_u32_e32 v14, -1, v14
	s_or_b64 s[20:21], s[20:21], s[24:25]
	s_andn2_b64 exec, exec, s[18:19]
	s_cbranch_execnz .LBB0_26
; %bb.27:                               ;   in Loop: Header=BB0_15 Depth=1
	s_or_b64 exec, exec, s[18:19]
	s_andn2_b64 s[0:1], s[0:1], exec
	s_and_b64 s[18:19], s[20:21], exec
	s_or_b64 s[0:1], s[0:1], s[18:19]
	s_or_b64 exec, exec, s[16:17]
	s_mov_b64 s[18:19], 0
	s_and_saveexec_b64 s[16:17], s[0:1]
	s_cbranch_execz .LBB0_31
.LBB0_28:                               ;   in Loop: Header=BB0_15 Depth=1
	v_add_co_u32_e32 v0, vcc, 1, v0
	v_addc_co_u32_e32 v1, vcc, 0, v1, vcc
	v_lshlrev_b64 v[12:13], v10, 1
	v_or_b32_e32 v7, v7, v12
	v_cmp_eq_u32_e32 vcc, s12, v11
	s_mov_b64 s[0:1], 0
	s_and_saveexec_b64 s[18:19], vcc
	s_xor_b64 s[18:19], exec, s[18:19]
; %bb.29:                               ;   in Loop: Header=BB0_15 Depth=1
	v_add_co_u32_e32 v4, vcc, 1, v4
	s_mov_b64 s[0:1], exec
	v_addc_co_u32_e32 v5, vcc, 0, v5, vcc
                                        ; implicit-def: $vgpr11
; %bb.30:                               ;   in Loop: Header=BB0_15 Depth=1
	s_or_b64 exec, exec, s[18:19]
	s_and_b64 s[18:19], s[0:1], exec
	v_mov_b32_e32 v9, v11
.LBB0_31:                               ;   in Loop: Header=BB0_15 Depth=1
	s_or_b64 exec, exec, s[16:17]
	s_and_b64 s[0:1], s[18:19], exec
.LBB0_32:                               ;   in Loop: Header=BB0_15 Depth=1
	s_or_b64 exec, exec, s[10:11]
	s_and_b64 s[0:1], s[0:1], exec
                                        ; implicit-def: $vgpr12
	s_or_saveexec_b64 s[8:9], s[8:9]
	v_mov_b32_e32 v10, s12
	s_xor_b64 exec, exec, s[8:9]
	s_cbranch_execz .LBB0_17
.LBB0_33:                               ;   in Loop: Header=BB0_15 Depth=1
	s_or_b64 s[0:1], s[0:1], exec
	v_mov_b32_e32 v10, v9
	ds_write_b8 v12, v8
                                        ; implicit-def: $vgpr9
	s_or_b64 exec, exec, s[8:9]
	s_and_saveexec_b64 s[8:9], s[0:1]
	s_cbranch_execz .LBB0_14
.LBB0_34:                               ;   in Loop: Header=BB0_15 Depth=1
	v_add_u32_e32 v9, -1, v10
	v_add_u32_e32 v10, v6, v9
	ds_read_i8 v10, v10
	s_waitcnt lgkmcnt(0)
	v_lshlrev_b64 v[10:11], v10, 1
	v_not_b32_e32 v10, v10
	s_waitcnt vmcnt(0)
	v_and_b32_e32 v7, v7, v10
	s_branch .LBB0_14
.LBB0_35:
	s_or_b64 exec, exec, s[2:3]
	v_lshlrev_b64 v[2:3], 3, v[2:3]
	s_waitcnt vmcnt(0)
	v_mov_b32_e32 v7, s7
	v_add_co_u32_e32 v6, vcc, s6, v2
	v_addc_co_u32_e32 v7, vcc, v7, v3, vcc
	global_store_dwordx2 v[6:7], v[4:5], off
	v_mov_b32_e32 v4, s5
	v_add_co_u32_e32 v2, vcc, s4, v2
	v_addc_co_u32_e32 v3, vcc, v4, v3, vcc
	global_store_dwordx2 v[2:3], v[0:1], off
.LBB0_36:
	s_endpgm
	.section	.rodata,"a",@progbits
	.p2align	6, 0x0
	.amdhsa_kernel _Z18BP_queens_root_dfsijiPK10queen_rootPyS2_
		.amdhsa_group_segment_fixed_size 20480
		.amdhsa_private_segment_fixed_size 0
		.amdhsa_kernarg_size 296
		.amdhsa_user_sgpr_count 8
		.amdhsa_user_sgpr_private_segment_buffer 1
		.amdhsa_user_sgpr_dispatch_ptr 1
		.amdhsa_user_sgpr_queue_ptr 0
		.amdhsa_user_sgpr_kernarg_segment_ptr 1
		.amdhsa_user_sgpr_dispatch_id 0
		.amdhsa_user_sgpr_flat_scratch_init 0
		.amdhsa_user_sgpr_kernarg_preload_length 0
		.amdhsa_user_sgpr_kernarg_preload_offset 0
		.amdhsa_user_sgpr_private_segment_size 0
		.amdhsa_uses_dynamic_stack 0
		.amdhsa_system_sgpr_private_segment_wavefront_offset 0
		.amdhsa_system_sgpr_workgroup_id_x 1
		.amdhsa_system_sgpr_workgroup_id_y 0
		.amdhsa_system_sgpr_workgroup_id_z 0
		.amdhsa_system_sgpr_workgroup_info 0
		.amdhsa_system_vgpr_workitem_id 2
		.amdhsa_next_free_vgpr 16
		.amdhsa_next_free_sgpr 28
		.amdhsa_accum_offset 16
		.amdhsa_reserve_vcc 1
		.amdhsa_reserve_flat_scratch 0
		.amdhsa_float_round_mode_32 0
		.amdhsa_float_round_mode_16_64 0
		.amdhsa_float_denorm_mode_32 3
		.amdhsa_float_denorm_mode_16_64 3
		.amdhsa_dx10_clamp 1
		.amdhsa_ieee_mode 1
		.amdhsa_fp16_overflow 0
		.amdhsa_tg_split 0
		.amdhsa_exception_fp_ieee_invalid_op 0
		.amdhsa_exception_fp_denorm_src 0
		.amdhsa_exception_fp_ieee_div_zero 0
		.amdhsa_exception_fp_ieee_overflow 0
		.amdhsa_exception_fp_ieee_underflow 0
		.amdhsa_exception_fp_ieee_inexact 0
		.amdhsa_exception_int_div_zero 0
	.end_amdhsa_kernel
	.text
.Lfunc_end0:
	.size	_Z18BP_queens_root_dfsijiPK10queen_rootPyS2_, .Lfunc_end0-_Z18BP_queens_root_dfsijiPK10queen_rootPyS2_
                                        ; -- End function
	.section	.AMDGPU.csdata,"",@progbits
; Kernel info:
; codeLenInByte = 1064
; NumSgprs: 32
; NumVgprs: 16
; NumAgprs: 0
; TotalNumVgprs: 16
; ScratchSize: 0
; MemoryBound: 0
; FloatMode: 240
; IeeeMode: 1
; LDSByteSize: 20480 bytes/workgroup (compile time only)
; SGPRBlocks: 3
; VGPRBlocks: 1
; NumSGPRsForWavesPerEU: 32
; NumVGPRsForWavesPerEU: 16
; AccumOffset: 16
; Occupancy: 8
; WaveLimiterHint : 0
; COMPUTE_PGM_RSRC2:SCRATCH_EN: 0
; COMPUTE_PGM_RSRC2:USER_SGPR: 8
; COMPUTE_PGM_RSRC2:TRAP_HANDLER: 0
; COMPUTE_PGM_RSRC2:TGID_X_EN: 1
; COMPUTE_PGM_RSRC2:TGID_Y_EN: 0
; COMPUTE_PGM_RSRC2:TGID_Z_EN: 0
; COMPUTE_PGM_RSRC2:TIDIG_COMP_CNT: 2
; COMPUTE_PGM_RSRC3_GFX90A:ACCUM_OFFSET: 3
; COMPUTE_PGM_RSRC3_GFX90A:TG_SPLIT: 0
	.text
	.p2alignl 6, 3212836864
	.fill 256, 4, 3212836864
	.type	__hip_cuid_74ef8886b5bbd1d6,@object ; @__hip_cuid_74ef8886b5bbd1d6
	.section	.bss,"aw",@nobits
	.globl	__hip_cuid_74ef8886b5bbd1d6
__hip_cuid_74ef8886b5bbd1d6:
	.byte	0                               ; 0x0
	.size	__hip_cuid_74ef8886b5bbd1d6, 1

	.ident	"AMD clang version 19.0.0git (https://github.com/RadeonOpenCompute/llvm-project roc-6.4.0 25133 c7fe45cf4b819c5991fe208aaa96edf142730f1d)"
	.section	".note.GNU-stack","",@progbits
	.addrsig
	.addrsig_sym __hip_cuid_74ef8886b5bbd1d6
	.amdgpu_metadata
---
amdhsa.kernels:
  - .agpr_count:     0
    .args:
      - .offset:         0
        .size:           4
        .value_kind:     by_value
      - .offset:         4
        .size:           4
        .value_kind:     by_value
      - .offset:         8
        .size:           4
        .value_kind:     by_value
      - .actual_access:  read_only
        .address_space:  global
        .offset:         16
        .size:           8
        .value_kind:     global_buffer
      - .actual_access:  write_only
        .address_space:  global
        .offset:         24
        .size:           8
        .value_kind:     global_buffer
      - .actual_access:  write_only
        .address_space:  global
        .offset:         32
        .size:           8
        .value_kind:     global_buffer
      - .offset:         40
        .size:           4
        .value_kind:     hidden_block_count_x
      - .offset:         44
        .size:           4
        .value_kind:     hidden_block_count_y
      - .offset:         48
        .size:           4
        .value_kind:     hidden_block_count_z
      - .offset:         52
        .size:           2
        .value_kind:     hidden_group_size_x
      - .offset:         54
        .size:           2
        .value_kind:     hidden_group_size_y
      - .offset:         56
        .size:           2
        .value_kind:     hidden_group_size_z
      - .offset:         58
        .size:           2
        .value_kind:     hidden_remainder_x
      - .offset:         60
        .size:           2
        .value_kind:     hidden_remainder_y
      - .offset:         62
        .size:           2
        .value_kind:     hidden_remainder_z
      - .offset:         80
        .size:           8
        .value_kind:     hidden_global_offset_x
      - .offset:         88
        .size:           8
        .value_kind:     hidden_global_offset_y
      - .offset:         96
        .size:           8
        .value_kind:     hidden_global_offset_z
      - .offset:         104
        .size:           2
        .value_kind:     hidden_grid_dims
    .group_segment_fixed_size: 20480
    .kernarg_segment_align: 8
    .kernarg_segment_size: 296
    .language:       OpenCL C
    .language_version:
      - 2
      - 0
    .max_flat_workgroup_size: 1024
    .name:           _Z18BP_queens_root_dfsijiPK10queen_rootPyS2_
    .private_segment_fixed_size: 0
    .sgpr_count:     32
    .sgpr_spill_count: 0
    .symbol:         _Z18BP_queens_root_dfsijiPK10queen_rootPyS2_.kd
    .uniform_work_group_size: 1
    .uses_dynamic_stack: false
    .vgpr_count:     16
    .vgpr_spill_count: 0
    .wavefront_size: 64
amdhsa.target:   amdgcn-amd-amdhsa--gfx90a
amdhsa.version:
  - 1
  - 2
...

	.end_amdgpu_metadata
